;; amdgpu-corpus repo=ROCm/rocFFT kind=compiled arch=gfx906 opt=O3
	.text
	.amdgcn_target "amdgcn-amd-amdhsa--gfx906"
	.amdhsa_code_object_version 6
	.protected	fft_rtc_fwd_len220_factors_10_2_11_wgs_110_tpt_22_sp_op_CI_CI_unitstride_sbrr_C2R_dirReg ; -- Begin function fft_rtc_fwd_len220_factors_10_2_11_wgs_110_tpt_22_sp_op_CI_CI_unitstride_sbrr_C2R_dirReg
	.globl	fft_rtc_fwd_len220_factors_10_2_11_wgs_110_tpt_22_sp_op_CI_CI_unitstride_sbrr_C2R_dirReg
	.p2align	8
	.type	fft_rtc_fwd_len220_factors_10_2_11_wgs_110_tpt_22_sp_op_CI_CI_unitstride_sbrr_C2R_dirReg,@function
fft_rtc_fwd_len220_factors_10_2_11_wgs_110_tpt_22_sp_op_CI_CI_unitstride_sbrr_C2R_dirReg: ; @fft_rtc_fwd_len220_factors_10_2_11_wgs_110_tpt_22_sp_op_CI_CI_unitstride_sbrr_C2R_dirReg
; %bb.0:
	s_load_dwordx4 s[8:11], s[4:5], 0x58
	s_load_dwordx4 s[12:15], s[4:5], 0x0
	;; [unrolled: 1-line block ×3, first 2 shown]
	v_mul_u32_u24_e32 v1, 0xba3, v0
	v_lshrrev_b32_e32 v1, 16, v1
	v_mad_u64_u32 v[3:4], s[0:1], s6, 5, v[1:2]
	v_mov_b32_e32 v5, 0
	v_mov_b32_e32 v1, 0
	;; [unrolled: 1-line block ×3, first 2 shown]
	s_waitcnt lgkmcnt(0)
	v_cmp_lt_u64_e64 s[0:1], s[14:15], 2
	v_mov_b32_e32 v2, 0
	v_mov_b32_e32 v21, v2
	;; [unrolled: 1-line block ×3, first 2 shown]
	s_and_b64 vcc, exec, s[0:1]
	v_mov_b32_e32 v20, v1
	v_mov_b32_e32 v22, v3
	s_cbranch_vccnz .LBB0_8
; %bb.1:
	s_load_dwordx2 s[0:1], s[4:5], 0x10
	s_add_u32 s2, s18, 8
	s_addc_u32 s3, s19, 0
	s_add_u32 s6, s16, 8
	v_mov_b32_e32 v1, 0
	s_addc_u32 s7, s17, 0
	v_mov_b32_e32 v2, 0
	s_waitcnt lgkmcnt(0)
	s_add_u32 s20, s0, 8
	v_mov_b32_e32 v21, v2
	v_mov_b32_e32 v8, v4
	s_addc_u32 s21, s1, 0
	s_mov_b64 s[22:23], 1
	v_mov_b32_e32 v20, v1
	v_mov_b32_e32 v7, v3
.LBB0_2:                                ; =>This Inner Loop Header: Depth=1
	s_load_dwordx2 s[24:25], s[20:21], 0x0
                                        ; implicit-def: $vgpr22_vgpr23
	s_waitcnt lgkmcnt(0)
	v_or_b32_e32 v6, s25, v8
	v_cmp_ne_u64_e32 vcc, 0, v[5:6]
	s_and_saveexec_b64 s[0:1], vcc
	s_xor_b64 s[26:27], exec, s[0:1]
	s_cbranch_execz .LBB0_4
; %bb.3:                                ;   in Loop: Header=BB0_2 Depth=1
	v_cvt_f32_u32_e32 v4, s24
	v_cvt_f32_u32_e32 v6, s25
	s_sub_u32 s0, 0, s24
	s_subb_u32 s1, 0, s25
	v_mac_f32_e32 v4, 0x4f800000, v6
	v_rcp_f32_e32 v4, v4
	v_mul_f32_e32 v4, 0x5f7ffffc, v4
	v_mul_f32_e32 v6, 0x2f800000, v4
	v_trunc_f32_e32 v6, v6
	v_mac_f32_e32 v4, 0xcf800000, v6
	v_cvt_u32_f32_e32 v6, v6
	v_cvt_u32_f32_e32 v4, v4
	v_mul_lo_u32 v9, s0, v6
	v_mul_hi_u32 v10, s0, v4
	v_mul_lo_u32 v12, s1, v4
	v_mul_lo_u32 v11, s0, v4
	v_add_u32_e32 v9, v10, v9
	v_add_u32_e32 v9, v9, v12
	v_mul_hi_u32 v10, v4, v11
	v_mul_lo_u32 v12, v4, v9
	v_mul_hi_u32 v14, v4, v9
	v_mul_hi_u32 v13, v6, v11
	v_mul_lo_u32 v11, v6, v11
	v_mul_hi_u32 v15, v6, v9
	v_add_co_u32_e32 v10, vcc, v10, v12
	v_addc_co_u32_e32 v12, vcc, 0, v14, vcc
	v_mul_lo_u32 v9, v6, v9
	v_add_co_u32_e32 v10, vcc, v10, v11
	v_addc_co_u32_e32 v10, vcc, v12, v13, vcc
	v_addc_co_u32_e32 v11, vcc, 0, v15, vcc
	v_add_co_u32_e32 v9, vcc, v10, v9
	v_addc_co_u32_e32 v10, vcc, 0, v11, vcc
	v_add_co_u32_e32 v4, vcc, v4, v9
	v_addc_co_u32_e32 v6, vcc, v6, v10, vcc
	v_mul_lo_u32 v9, s0, v6
	v_mul_hi_u32 v10, s0, v4
	v_mul_lo_u32 v11, s1, v4
	v_mul_lo_u32 v12, s0, v4
	v_add_u32_e32 v9, v10, v9
	v_add_u32_e32 v9, v9, v11
	v_mul_lo_u32 v13, v4, v9
	v_mul_hi_u32 v14, v4, v12
	v_mul_hi_u32 v15, v4, v9
	;; [unrolled: 1-line block ×3, first 2 shown]
	v_mul_lo_u32 v12, v6, v12
	v_mul_hi_u32 v10, v6, v9
	v_add_co_u32_e32 v13, vcc, v14, v13
	v_addc_co_u32_e32 v14, vcc, 0, v15, vcc
	v_mul_lo_u32 v9, v6, v9
	v_add_co_u32_e32 v12, vcc, v13, v12
	v_addc_co_u32_e32 v11, vcc, v14, v11, vcc
	v_addc_co_u32_e32 v10, vcc, 0, v10, vcc
	v_add_co_u32_e32 v9, vcc, v11, v9
	v_addc_co_u32_e32 v10, vcc, 0, v10, vcc
	v_add_co_u32_e32 v4, vcc, v4, v9
	v_addc_co_u32_e32 v6, vcc, v6, v10, vcc
	v_mad_u64_u32 v[9:10], s[0:1], v7, v6, 0
	v_mul_hi_u32 v11, v7, v4
	v_add_co_u32_e32 v13, vcc, v11, v9
	v_addc_co_u32_e32 v14, vcc, 0, v10, vcc
	v_mad_u64_u32 v[9:10], s[0:1], v8, v4, 0
	v_mad_u64_u32 v[11:12], s[0:1], v8, v6, 0
	v_add_co_u32_e32 v4, vcc, v13, v9
	v_addc_co_u32_e32 v4, vcc, v14, v10, vcc
	v_addc_co_u32_e32 v6, vcc, 0, v12, vcc
	v_add_co_u32_e32 v4, vcc, v4, v11
	v_addc_co_u32_e32 v6, vcc, 0, v6, vcc
	v_mul_lo_u32 v11, s25, v4
	v_mul_lo_u32 v12, s24, v6
	v_mad_u64_u32 v[9:10], s[0:1], s24, v4, 0
	v_add3_u32 v10, v10, v12, v11
	v_sub_u32_e32 v11, v8, v10
	v_mov_b32_e32 v12, s25
	v_sub_co_u32_e32 v9, vcc, v7, v9
	v_subb_co_u32_e64 v11, s[0:1], v11, v12, vcc
	v_subrev_co_u32_e64 v12, s[0:1], s24, v9
	v_subbrev_co_u32_e64 v11, s[0:1], 0, v11, s[0:1]
	v_cmp_le_u32_e64 s[0:1], s25, v11
	v_cndmask_b32_e64 v13, 0, -1, s[0:1]
	v_cmp_le_u32_e64 s[0:1], s24, v12
	v_cndmask_b32_e64 v12, 0, -1, s[0:1]
	v_cmp_eq_u32_e64 s[0:1], s25, v11
	v_cndmask_b32_e64 v11, v13, v12, s[0:1]
	v_add_co_u32_e64 v12, s[0:1], 2, v4
	v_addc_co_u32_e64 v13, s[0:1], 0, v6, s[0:1]
	v_add_co_u32_e64 v14, s[0:1], 1, v4
	v_addc_co_u32_e64 v15, s[0:1], 0, v6, s[0:1]
	v_subb_co_u32_e32 v10, vcc, v8, v10, vcc
	v_cmp_ne_u32_e64 s[0:1], 0, v11
	v_cmp_le_u32_e32 vcc, s25, v10
	v_cndmask_b32_e64 v11, v15, v13, s[0:1]
	v_cndmask_b32_e64 v13, 0, -1, vcc
	v_cmp_le_u32_e32 vcc, s24, v9
	v_cndmask_b32_e64 v9, 0, -1, vcc
	v_cmp_eq_u32_e32 vcc, s25, v10
	v_cndmask_b32_e32 v9, v13, v9, vcc
	v_cmp_ne_u32_e32 vcc, 0, v9
	v_cndmask_b32_e32 v23, v6, v11, vcc
	v_cndmask_b32_e64 v6, v14, v12, s[0:1]
	v_cndmask_b32_e32 v22, v4, v6, vcc
.LBB0_4:                                ;   in Loop: Header=BB0_2 Depth=1
	s_andn2_saveexec_b64 s[0:1], s[26:27]
	s_cbranch_execz .LBB0_6
; %bb.5:                                ;   in Loop: Header=BB0_2 Depth=1
	v_cvt_f32_u32_e32 v4, s24
	s_sub_i32 s26, 0, s24
	v_mov_b32_e32 v23, v5
	v_rcp_iflag_f32_e32 v4, v4
	v_mul_f32_e32 v4, 0x4f7ffffe, v4
	v_cvt_u32_f32_e32 v4, v4
	v_mul_lo_u32 v6, s26, v4
	v_mul_hi_u32 v6, v4, v6
	v_add_u32_e32 v4, v4, v6
	v_mul_hi_u32 v4, v7, v4
	v_mul_lo_u32 v6, v4, s24
	v_add_u32_e32 v9, 1, v4
	v_sub_u32_e32 v6, v7, v6
	v_subrev_u32_e32 v10, s24, v6
	v_cmp_le_u32_e32 vcc, s24, v6
	v_cndmask_b32_e32 v6, v6, v10, vcc
	v_cndmask_b32_e32 v4, v4, v9, vcc
	v_add_u32_e32 v9, 1, v4
	v_cmp_le_u32_e32 vcc, s24, v6
	v_cndmask_b32_e32 v22, v4, v9, vcc
.LBB0_6:                                ;   in Loop: Header=BB0_2 Depth=1
	s_or_b64 exec, exec, s[0:1]
	v_mul_lo_u32 v4, v23, s24
	v_mul_lo_u32 v6, v22, s25
	v_mad_u64_u32 v[9:10], s[0:1], v22, s24, 0
	s_load_dwordx2 s[0:1], s[6:7], 0x0
	s_load_dwordx2 s[24:25], s[2:3], 0x0
	v_add3_u32 v4, v10, v6, v4
	v_sub_co_u32_e32 v6, vcc, v7, v9
	v_subb_co_u32_e32 v4, vcc, v8, v4, vcc
	s_waitcnt lgkmcnt(0)
	v_mul_lo_u32 v7, s0, v4
	v_mul_lo_u32 v8, s1, v6
	v_mad_u64_u32 v[1:2], s[0:1], s0, v6, v[1:2]
	s_add_u32 s22, s22, 1
	s_addc_u32 s23, s23, 0
	s_add_u32 s2, s2, 8
	v_mul_lo_u32 v4, s24, v4
	v_mul_lo_u32 v9, s25, v6
	v_mad_u64_u32 v[20:21], s[0:1], s24, v6, v[20:21]
	v_add3_u32 v2, v8, v2, v7
	s_addc_u32 s3, s3, 0
	v_mov_b32_e32 v6, s14
	s_add_u32 s6, s6, 8
	v_mov_b32_e32 v7, s15
	s_addc_u32 s7, s7, 0
	v_cmp_ge_u64_e32 vcc, s[22:23], v[6:7]
	s_add_u32 s20, s20, 8
	v_add3_u32 v21, v9, v21, v4
	s_addc_u32 s21, s21, 0
	s_cbranch_vccnz .LBB0_8
; %bb.7:                                ;   in Loop: Header=BB0_2 Depth=1
	v_mov_b32_e32 v7, v22
	v_mov_b32_e32 v8, v23
	s_branch .LBB0_2
.LBB0_8:
	s_mov_b32 s2, 0xcccccccd
	s_load_dwordx2 s[0:1], s[4:5], 0x28
	v_mul_hi_u32 v4, v3, s2
	s_lshl_b64 s[6:7], s[14:15], 3
	s_add_u32 s2, s18, s6
	s_addc_u32 s3, s19, s7
	v_lshrrev_b32_e32 v4, 2, v4
	v_lshl_add_u32 v4, v4, 2, v4
	s_waitcnt lgkmcnt(0)
	v_cmp_gt_u64_e32 vcc, s[0:1], v[22:23]
	v_cmp_le_u64_e64 s[0:1], s[0:1], v[22:23]
	v_sub_u32_e32 v3, v3, v4
                                        ; implicit-def: $vgpr24
	s_and_saveexec_b64 s[4:5], s[0:1]
	s_xor_b64 s[0:1], exec, s[4:5]
; %bb.9:
	s_mov_b32 s4, 0xba2e8bb
	v_mul_hi_u32 v1, v0, s4
	v_mul_u32_u24_e32 v1, 22, v1
	v_sub_u32_e32 v24, v0, v1
                                        ; implicit-def: $vgpr0
                                        ; implicit-def: $vgpr1_vgpr2
; %bb.10:
	s_or_saveexec_b64 s[4:5], s[0:1]
	s_load_dwordx2 s[2:3], s[2:3], 0x0
	v_mul_u32_u24_e32 v3, 0xdd, v3
	v_lshlrev_b32_e32 v18, 3, v3
	s_xor_b64 exec, exec, s[4:5]
	s_cbranch_execz .LBB0_14
; %bb.11:
	s_add_u32 s0, s16, s6
	s_addc_u32 s1, s17, s7
	s_load_dwordx2 s[0:1], s[0:1], 0x0
	s_mov_b32 s6, 0xba2e8bb
	v_mul_hi_u32 v6, v0, s6
	s_waitcnt lgkmcnt(0)
	v_mul_lo_u32 v7, s1, v22
	v_mul_lo_u32 v8, s0, v23
	v_mad_u64_u32 v[4:5], s[0:1], s0, v22, 0
	v_mul_u32_u24_e32 v6, 22, v6
	v_sub_u32_e32 v24, v0, v6
	v_add3_u32 v5, v5, v8, v7
	v_lshlrev_b64 v[4:5], 3, v[4:5]
	v_mov_b32_e32 v0, s9
	v_add_co_u32_e64 v4, s[0:1], s8, v4
	v_addc_co_u32_e64 v5, s[0:1], v0, v5, s[0:1]
	v_lshlrev_b64 v[0:1], 3, v[1:2]
	v_lshlrev_b32_e32 v2, 3, v24
	v_add_co_u32_e64 v0, s[0:1], v4, v0
	v_addc_co_u32_e64 v1, s[0:1], v5, v1, s[0:1]
	v_add_co_u32_e64 v4, s[0:1], v0, v2
	v_addc_co_u32_e64 v5, s[0:1], 0, v1, s[0:1]
	global_load_dwordx2 v[6:7], v[4:5], off
	global_load_dwordx2 v[8:9], v[4:5], off offset:176
	global_load_dwordx2 v[10:11], v[4:5], off offset:352
	;; [unrolled: 1-line block ×9, first 2 shown]
	v_add3_u32 v2, 0, v18, v2
	v_cmp_eq_u32_e64 s[0:1], 21, v24
	s_waitcnt vmcnt(8)
	ds_write2_b64 v2, v[6:7], v[8:9] offset1:22
	s_waitcnt vmcnt(6)
	ds_write2_b64 v2, v[10:11], v[12:13] offset0:44 offset1:66
	s_waitcnt vmcnt(4)
	ds_write2_b64 v2, v[14:15], v[16:17] offset0:88 offset1:110
	;; [unrolled: 2-line block ×4, first 2 shown]
	s_and_saveexec_b64 s[6:7], s[0:1]
	s_cbranch_execz .LBB0_13
; %bb.12:
	global_load_dwordx2 v[0:1], v[0:1], off offset:1760
	v_mov_b32_e32 v24, 21
	s_waitcnt vmcnt(0)
	ds_write_b64 v2, v[0:1] offset:1592
.LBB0_13:
	s_or_b64 exec, exec, s[6:7]
.LBB0_14:
	s_or_b64 exec, exec, s[4:5]
	v_lshl_add_u32 v27, v3, 3, 0
	v_lshlrev_b32_e32 v5, 3, v24
	v_add_u32_e32 v28, v27, v5
	s_waitcnt lgkmcnt(0)
	s_barrier
	v_sub_u32_e32 v4, v27, v5
	ds_read_b32 v6, v28
	ds_read_b32 v7, v4 offset:1760
	v_cmp_ne_u32_e64 s[0:1], 0, v24
                                        ; implicit-def: $vgpr2_vgpr3
	s_waitcnt lgkmcnt(0)
	v_add_f32_e32 v0, v7, v6
	v_sub_f32_e32 v1, v6, v7
	s_and_saveexec_b64 s[4:5], s[0:1]
	s_xor_b64 s[4:5], exec, s[4:5]
	s_cbranch_execz .LBB0_16
; %bb.15:
	v_mov_b32_e32 v25, 0
	v_lshlrev_b64 v[0:1], 3, v[24:25]
	v_mov_b32_e32 v2, s13
	v_add_co_u32_e64 v0, s[0:1], s12, v0
	v_addc_co_u32_e64 v1, s[0:1], v2, v1, s[0:1]
	global_load_dwordx2 v[2:3], v[0:1], off offset:1680
	ds_read_b32 v0, v4 offset:1764
	ds_read_b32 v1, v28 offset:4
	v_add_f32_e32 v8, v7, v6
	v_sub_f32_e32 v9, v6, v7
	s_waitcnt lgkmcnt(0)
	v_add_f32_e32 v10, v0, v1
	v_sub_f32_e32 v0, v1, v0
	s_waitcnt vmcnt(0)
	v_fma_f32 v11, v9, v3, v8
	v_fma_f32 v1, v10, v3, v0
	v_fma_f32 v6, -v9, v3, v8
	v_fma_f32 v7, v10, v3, -v0
	v_fma_f32 v0, -v2, v10, v11
	v_fmac_f32_e32 v1, v9, v2
	v_fmac_f32_e32 v6, v2, v10
	;; [unrolled: 1-line block ×3, first 2 shown]
	v_mov_b32_e32 v2, v24
	ds_write_b64 v4, v[6:7] offset:1760
	v_mov_b32_e32 v3, v25
.LBB0_16:
	s_andn2_saveexec_b64 s[0:1], s[4:5]
	s_cbranch_execz .LBB0_18
; %bb.17:
	ds_read_b64 v[2:3], v27 offset:880
	s_waitcnt lgkmcnt(0)
	v_add_f32_e32 v6, v2, v2
	v_mul_f32_e32 v7, -2.0, v3
	v_mov_b32_e32 v2, 0
	v_mov_b32_e32 v3, 0
	ds_write_b64 v27, v[6:7] offset:880
.LBB0_18:
	s_or_b64 exec, exec, s[0:1]
	s_add_u32 s0, s12, 0x690
	v_lshlrev_b64 v[2:3], 3, v[2:3]
	s_addc_u32 s1, s13, 0
	v_mov_b32_e32 v6, s1
	v_add_co_u32_e64 v2, s[0:1], s0, v2
	v_addc_co_u32_e64 v3, s[0:1], v6, v3, s[0:1]
	global_load_dwordx2 v[6:7], v[2:3], off offset:176
	global_load_dwordx2 v[8:9], v[2:3], off offset:352
	;; [unrolled: 1-line block ×4, first 2 shown]
	ds_write_b64 v28, v[0:1]
	ds_read_b64 v[0:1], v28 offset:176
	ds_read_b64 v[2:3], v4 offset:1584
	v_add3_u32 v29, 0, v5, v18
	s_mov_b32 s0, 0x3f737871
	s_mov_b32 s4, 0xbf737871
	;; [unrolled: 1-line block ×3, first 2 shown]
	s_waitcnt lgkmcnt(0)
	v_add_f32_e32 v14, v0, v2
	v_add_f32_e32 v15, v3, v1
	v_sub_f32_e32 v16, v0, v2
	v_sub_f32_e32 v0, v1, v3
	s_mov_b32 s5, 0xbf167918
	s_waitcnt vmcnt(3)
	v_fma_f32 v17, v16, v7, v14
	v_fma_f32 v1, v15, v7, v0
	v_fma_f32 v2, -v16, v7, v14
	v_fma_f32 v3, v15, v7, -v0
	v_fma_f32 v0, -v6, v15, v17
	v_fmac_f32_e32 v1, v16, v6
	v_fmac_f32_e32 v2, v6, v15
	v_fmac_f32_e32 v3, v16, v6
	ds_write_b64 v28, v[0:1] offset:176
	ds_write_b64 v4, v[2:3] offset:1584
	ds_read_b64 v[0:1], v28 offset:352
	ds_read_b64 v[2:3], v4 offset:1408
	s_waitcnt lgkmcnt(0)
	v_add_f32_e32 v6, v0, v2
	v_add_f32_e32 v7, v3, v1
	v_sub_f32_e32 v14, v0, v2
	v_sub_f32_e32 v0, v1, v3
	s_waitcnt vmcnt(2)
	v_fma_f32 v15, v14, v9, v6
	v_fma_f32 v1, v7, v9, v0
	v_fma_f32 v2, -v14, v9, v6
	v_fma_f32 v3, v7, v9, -v0
	v_fma_f32 v0, -v8, v7, v15
	v_fmac_f32_e32 v1, v14, v8
	v_fmac_f32_e32 v2, v8, v7
	v_fmac_f32_e32 v3, v14, v8
	ds_write_b64 v28, v[0:1] offset:352
	ds_write_b64 v4, v[2:3] offset:1408
	ds_read_b64 v[0:1], v28 offset:528
	ds_read_b64 v[2:3], v4 offset:1232
	s_waitcnt lgkmcnt(0)
	v_add_f32_e32 v6, v0, v2
	v_add_f32_e32 v7, v3, v1
	v_sub_f32_e32 v8, v0, v2
	v_sub_f32_e32 v0, v1, v3
	;; [unrolled: 18-line block ×3, first 2 shown]
	s_waitcnt vmcnt(0)
	v_fma_f32 v8, v7, v13, v5
	v_fma_f32 v1, v6, v13, v0
	v_fma_f32 v2, -v7, v13, v5
	v_fma_f32 v3, v6, v13, -v0
	v_fma_f32 v0, -v12, v6, v8
	v_fmac_f32_e32 v1, v7, v12
	v_fmac_f32_e32 v2, v12, v6
	;; [unrolled: 1-line block ×3, first 2 shown]
	ds_write_b64 v28, v[0:1] offset:704
	ds_write_b64 v4, v[2:3] offset:1056
	s_waitcnt lgkmcnt(0)
	s_barrier
	s_barrier
	ds_read2_b64 v[0:3], v29 offset0:66 offset1:88
	ds_read2_b64 v[4:7], v29 offset0:110 offset1:132
	;; [unrolled: 1-line block ×3, first 2 shown]
	ds_read_b64 v[16:17], v29 offset:1584
	ds_read2_b64 v[12:15], v29 offset0:22 offset1:44
	ds_read_b64 v[25:26], v28
	s_waitcnt lgkmcnt(4)
	v_sub_f32_e32 v44, v3, v7
	v_add_f32_e32 v45, v3, v7
	s_waitcnt lgkmcnt(3)
	v_add_f32_e32 v19, v4, v8
	s_waitcnt lgkmcnt(1)
	v_sub_f32_e32 v34, v15, v11
	s_waitcnt lgkmcnt(0)
	v_add_f32_e32 v38, v26, v15
	v_add_f32_e32 v33, v25, v14
	v_sub_f32_e32 v39, v15, v3
	v_add_f32_e32 v40, v15, v11
	v_sub_f32_e32 v15, v3, v15
	v_add_f32_e32 v42, v13, v1
	v_add_f32_e32 v3, v38, v3
	;; [unrolled: 1-line block ×5, first 2 shown]
	v_sub_f32_e32 v35, v14, v2
	v_sub_f32_e32 v37, v2, v14
	v_add_f32_e32 v41, v12, v0
	v_add_f32_e32 v43, v2, v6
	v_sub_f32_e32 v46, v2, v6
	v_add_f32_e32 v2, v33, v2
	v_add_f32_e32 v3, v3, v7
	;; [unrolled: 1-line block ×4, first 2 shown]
	v_fma_f32 v19, -0.5, v19, v12
	v_fma_f32 v12, -0.5, v30, v12
	;; [unrolled: 1-line block ×4, first 2 shown]
	v_add_f32_e32 v2, v2, v6
	v_add_f32_e32 v32, v41, v4
	v_sub_f32_e32 v41, v11, v7
	v_sub_f32_e32 v7, v7, v11
	v_add_f32_e32 v11, v3, v11
	v_add_f32_e32 v3, v33, v9
	v_sub_f32_e32 v14, v14, v10
	v_sub_f32_e32 v47, v1, v17
	;; [unrolled: 1-line block ×7, first 2 shown]
	v_add_f32_e32 v10, v2, v10
	v_add_f32_e32 v2, v32, v8
	v_sub_f32_e32 v33, v17, v9
	v_sub_f32_e32 v9, v9, v17
	v_add_f32_e32 v17, v3, v17
	v_fma_f32 v3, -0.5, v36, v25
	v_sub_f32_e32 v48, v0, v4
	v_sub_f32_e32 v49, v4, v0
	;; [unrolled: 1-line block ×6, first 2 shown]
	v_add_f32_e32 v16, v2, v16
	v_add_f32_e32 v2, v35, v38
	v_fma_f32 v35, -0.5, v43, v25
	v_mov_b32_e32 v25, v3
	v_mov_b32_e32 v38, v35
	v_fmac_f32_e32 v25, 0xbf737871, v44
	v_fmac_f32_e32 v3, 0x3f737871, v44
	;; [unrolled: 1-line block ×6, first 2 shown]
	v_fma_f32 v34, -0.5, v45, v26
	v_fmac_f32_e32 v38, 0x3f167918, v44
	v_fmac_f32_e32 v35, 0xbf167918, v44
	v_mov_b32_e32 v36, v34
	v_fmac_f32_e32 v38, 0x3e9e377a, v2
	v_fmac_f32_e32 v35, 0x3e9e377a, v2
	v_add_f32_e32 v2, v37, v6
	v_fmac_f32_e32 v36, 0xbf737871, v14
	v_fmac_f32_e32 v34, 0x3f737871, v14
	v_fmac_f32_e32 v25, 0x3e9e377a, v2
	v_fmac_f32_e32 v3, 0x3e9e377a, v2
	v_add_f32_e32 v2, v39, v41
	v_fmac_f32_e32 v36, 0xbf167918, v46
	v_fmac_f32_e32 v34, 0x3f167918, v46
	v_fmac_f32_e32 v26, -0.5, v40
	v_fmac_f32_e32 v36, 0x3e9e377a, v2
	v_fmac_f32_e32 v34, 0x3e9e377a, v2
	v_add_f32_e32 v2, v15, v7
	v_mov_b32_e32 v15, v26
	v_fmac_f32_e32 v15, 0x3f737871, v46
	v_fmac_f32_e32 v26, 0xbf737871, v46
	v_fmac_f32_e32 v15, 0xbf167918, v14
	v_fmac_f32_e32 v26, 0x3f167918, v14
	v_mov_b32_e32 v14, v19
	v_fmac_f32_e32 v15, 0x3e9e377a, v2
	v_fmac_f32_e32 v26, 0x3e9e377a, v2
	v_add_f32_e32 v2, v48, v32
	v_fmac_f32_e32 v14, 0x3f737871, v47
	v_fmac_f32_e32 v19, 0xbf737871, v47
	v_mov_b32_e32 v32, v12
	v_fmac_f32_e32 v14, 0x3f167918, v5
	v_fmac_f32_e32 v19, 0xbf167918, v5
	;; [unrolled: 1-line block ×6, first 2 shown]
	v_add_f32_e32 v2, v49, v8
	v_fmac_f32_e32 v32, 0x3f167918, v47
	v_fmac_f32_e32 v12, 0xbf167918, v47
	;; [unrolled: 1-line block ×4, first 2 shown]
	v_add_f32_e32 v2, v31, v33
	v_mov_b32_e32 v31, v30
	v_mov_b32_e32 v33, v13
	v_fmac_f32_e32 v13, 0xbf737871, v4
	v_fmac_f32_e32 v31, 0xbf737871, v0
	;; [unrolled: 1-line block ×3, first 2 shown]
	v_add_f32_e32 v1, v1, v9
	v_fmac_f32_e32 v33, 0x3f737871, v4
	v_fmac_f32_e32 v13, 0x3f167918, v0
	v_fmac_f32_e32 v31, 0xbf167918, v4
	v_fmac_f32_e32 v30, 0x3f167918, v4
	v_fmac_f32_e32 v33, 0xbf167918, v0
	v_fmac_f32_e32 v13, 0x3e9e377a, v1
	v_mul_f32_e32 v0, 0x3e9e377a, v12
	v_fmac_f32_e32 v31, 0x3e9e377a, v2
	v_fmac_f32_e32 v30, 0x3e9e377a, v2
	v_fma_f32 v2, v13, s0, -v0
	v_mul_f32_e32 v0, 0x3e9e377a, v13
	v_fmac_f32_e32 v33, 0x3e9e377a, v1
	v_fma_f32 v4, v12, s4, -v0
	v_add_f32_e32 v0, v3, v2
	v_add_f32_e32 v1, v26, v4
	v_sub_f32_e32 v2, v3, v2
	v_sub_f32_e32 v3, v26, v4
	v_add_f32_e32 v4, v10, v16
	v_mul_f32_e32 v12, 0x3f4f1bbd, v14
	v_add_f32_e32 v5, v11, v17
	v_sub_f32_e32 v6, v10, v16
	v_sub_f32_e32 v7, v11, v17
	v_mul_f32_e32 v11, 0xbf167918, v14
	v_mul_f32_e32 v14, 0x3f737871, v33
	;; [unrolled: 1-line block ×5, first 2 shown]
	v_fmac_f32_e32 v12, 0x3f167918, v31
	v_fmac_f32_e32 v11, 0x3f4f1bbd, v31
	v_fmac_f32_e32 v14, 0x3e9e377a, v32
	v_fmac_f32_e32 v16, 0x3e9e377a, v33
	v_fma_f32 v26, v30, s1, -v13
	v_fma_f32 v19, v19, s5, -v17
	s_movk_i32 s0, 0x48
	v_add_f32_e32 v8, v38, v12
	v_add_f32_e32 v9, v36, v11
	v_sub_f32_e32 v10, v38, v12
	v_add_f32_e32 v12, v25, v14
	v_add_f32_e32 v13, v15, v16
	v_sub_f32_e32 v14, v25, v14
	v_sub_f32_e32 v15, v15, v16
	v_add_f32_e32 v16, v35, v26
	v_add_f32_e32 v17, v34, v19
	v_sub_f32_e32 v25, v35, v26
	v_sub_f32_e32 v26, v34, v19
	v_mad_u32_u24 v19, v24, s0, v29
	s_movk_i32 s0, 0xcd
	v_sub_f32_e32 v11, v36, v11
	s_barrier
	ds_write2_b64 v19, v[4:5], v[8:9] offset1:1
	ds_write2_b64 v19, v[12:13], v[0:1] offset0:2 offset1:3
	ds_write2_b64 v19, v[16:17], v[6:7] offset0:4 offset1:5
	;; [unrolled: 1-line block ×4, first 2 shown]
	v_mul_lo_u16_sdwa v0, v24, s0 dst_sel:DWORD dst_unused:UNUSED_PAD src0_sel:BYTE_0 src1_sel:DWORD
	v_lshrrev_b16_e32 v19, 11, v0
	v_mul_lo_u16_e32 v0, 10, v19
	v_sub_u16_e32 v0, v24, v0
	v_mov_b32_e32 v1, 3
	v_lshlrev_b32_sdwa v34, v1, v0 dst_sel:DWORD dst_unused:UNUSED_PAD src0_sel:DWORD src1_sel:BYTE_0
	v_add_u16_e32 v0, 22, v24
	v_mul_lo_u16_sdwa v2, v0, s0 dst_sel:DWORD dst_unused:UNUSED_PAD src0_sel:BYTE_0 src1_sel:DWORD
	v_lshrrev_b16_e32 v35, 11, v2
	v_mul_lo_u16_e32 v2, 10, v35
	v_sub_u16_e32 v0, v0, v2
	v_lshlrev_b32_sdwa v36, v1, v0 dst_sel:DWORD dst_unused:UNUSED_PAD src0_sel:DWORD src1_sel:BYTE_0
	v_add_u16_e32 v0, 44, v24
	v_mul_lo_u16_sdwa v2, v0, s0 dst_sel:DWORD dst_unused:UNUSED_PAD src0_sel:BYTE_0 src1_sel:DWORD
	v_lshrrev_b16_e32 v37, 11, v2
	v_mul_lo_u16_e32 v2, 10, v37
	s_waitcnt lgkmcnt(0)
	s_barrier
	global_load_dwordx2 v[4:5], v34, s[12:13]
	global_load_dwordx2 v[8:9], v36, s[12:13]
	v_sub_u16_e32 v0, v0, v2
	v_lshlrev_b32_sdwa v38, v1, v0 dst_sel:DWORD dst_unused:UNUSED_PAD src0_sel:DWORD src1_sel:BYTE_0
	global_load_dwordx2 v[10:11], v38, s[12:13]
	v_add_u16_e32 v0, 0x42, v24
	v_mul_lo_u16_sdwa v2, v0, s0 dst_sel:DWORD dst_unused:UNUSED_PAD src0_sel:BYTE_0 src1_sel:DWORD
	v_lshrrev_b16_e32 v39, 11, v2
	v_mul_lo_u16_e32 v2, 10, v39
	v_sub_u16_e32 v0, v0, v2
	v_lshlrev_b32_sdwa v40, v1, v0 dst_sel:DWORD dst_unused:UNUSED_PAD src0_sel:DWORD src1_sel:BYTE_0
	global_load_dwordx2 v[12:13], v40, s[12:13]
	v_add_u16_e32 v0, 0x58, v24
	v_mul_lo_u16_sdwa v2, v0, s0 dst_sel:DWORD dst_unused:UNUSED_PAD src0_sel:BYTE_0 src1_sel:DWORD
	v_lshrrev_b16_e32 v41, 11, v2
	v_mul_lo_u16_e32 v2, 10, v41
	v_sub_u16_e32 v0, v0, v2
	v_lshlrev_b32_sdwa v42, v1, v0 dst_sel:DWORD dst_unused:UNUSED_PAD src0_sel:DWORD src1_sel:BYTE_0
	global_load_dwordx2 v[14:15], v42, s[12:13]
	ds_read2_b64 v[0:3], v29 offset0:110 offset1:132
	s_movk_i32 s0, 0xa0
	v_mad_u32_u24 v19, v19, s0, 0
	v_add3_u32 v19, v19, v34, v18
	s_waitcnt vmcnt(4) lgkmcnt(0)
	v_mul_f32_e32 v6, v5, v1
	v_mul_f32_e32 v44, v5, v0
	v_fma_f32 v43, v4, v0, -v6
	v_fmac_f32_e32 v44, v4, v1
	ds_read2_b64 v[4:7], v29 offset0:154 offset1:176
	s_waitcnt vmcnt(3)
	v_mul_f32_e32 v0, v9, v3
	v_fma_f32 v16, v8, v2, -v0
	v_mul_f32_e32 v2, v9, v2
	v_fmac_f32_e32 v2, v8, v3
	s_waitcnt vmcnt(2) lgkmcnt(0)
	v_mul_f32_e32 v0, v11, v5
	v_fma_f32 v3, v10, v4, -v0
	s_waitcnt vmcnt(1)
	v_mul_f32_e32 v0, v13, v7
	v_fma_f32 v17, v12, v6, -v0
	ds_read_b64 v[0:1], v29 offset:1584
	v_mul_f32_e32 v13, v13, v6
	v_fmac_f32_e32 v13, v12, v7
	ds_read2_b64 v[6:9], v29 offset0:22 offset1:44
	ds_read_b64 v[25:26], v28
	ds_read2_b64 v[30:33], v29 offset0:66 offset1:88
	v_mul_f32_e32 v11, v11, v4
	s_waitcnt vmcnt(0) lgkmcnt(3)
	v_mul_f32_e32 v4, v15, v1
	v_mul_f32_e32 v15, v15, v0
	v_fmac_f32_e32 v11, v10, v5
	v_fma_f32 v45, v14, v0, -v4
	v_fmac_f32_e32 v15, v14, v1
	s_waitcnt lgkmcnt(2)
	v_sub_f32_e32 v0, v6, v16
	v_sub_f32_e32 v1, v7, v2
	;; [unrolled: 1-line block ×4, first 2 shown]
	s_waitcnt lgkmcnt(0)
	v_sub_f32_e32 v12, v30, v17
	v_sub_f32_e32 v13, v31, v13
	;; [unrolled: 1-line block ×4, first 2 shown]
	v_fma_f32 v10, v6, 2.0, -v0
	v_fma_f32 v11, v7, 2.0, -v1
	;; [unrolled: 1-line block ×8, first 2 shown]
	v_sub_f32_e32 v8, v25, v43
	v_sub_f32_e32 v9, v26, v44
	v_mad_u32_u24 v30, v35, s0, 0
	v_mad_u32_u24 v31, v37, s0, 0
	;; [unrolled: 1-line block ×4, first 2 shown]
	v_fma_f32 v25, v25, 2.0, -v8
	v_fma_f32 v26, v26, 2.0, -v9
	v_add3_u32 v30, v30, v36, v18
	v_add3_u32 v31, v31, v38, v18
	;; [unrolled: 1-line block ×4, first 2 shown]
	v_cmp_gt_u32_e64 s[0:1], 20, v24
	s_barrier
	ds_write2_b64 v19, v[25:26], v[8:9] offset1:10
	ds_write2_b64 v30, v[10:11], v[0:1] offset1:10
	;; [unrolled: 1-line block ×5, first 2 shown]
	s_waitcnt lgkmcnt(0)
	s_barrier
	s_and_saveexec_b64 s[4:5], s[0:1]
	s_cbranch_execz .LBB0_20
; %bb.19:
	ds_read_b64 v[25:26], v28
	ds_read2_b64 v[8:11], v29 offset0:20 offset1:40
	ds_read2_b64 v[0:3], v29 offset0:60 offset1:80
	;; [unrolled: 1-line block ×5, first 2 shown]
.LBB0_20:
	s_or_b64 exec, exec, s[4:5]
	s_waitcnt lgkmcnt(0)
	s_barrier
	s_and_saveexec_b64 s[4:5], s[0:1]
	s_cbranch_execz .LBB0_22
; %bb.21:
	v_subrev_u32_e32 v30, 20, v24
	v_cndmask_b32_e64 v30, v30, v24, s[0:1]
	v_mul_i32_i24_e32 v30, 10, v30
	v_mov_b32_e32 v31, 0
	v_lshlrev_b64 v[30:31], 3, v[30:31]
	v_mov_b32_e32 v32, s13
	v_add_co_u32_e64 v50, s[0:1], s12, v30
	v_addc_co_u32_e64 v51, s[0:1], v32, v31, s[0:1]
	global_load_dwordx4 v[30:33], v[50:51], off offset:80
	global_load_dwordx4 v[34:37], v[50:51], off offset:144
	;; [unrolled: 1-line block ×5, first 2 shown]
	s_mov_b32 s0, 0xbf75a155
	s_mov_b32 s1, 0x3f575c64
	;; [unrolled: 1-line block ×5, first 2 shown]
	s_waitcnt vmcnt(4)
	v_mul_f32_e32 v50, v9, v31
	s_waitcnt vmcnt(3)
	v_mul_f32_e32 v51, v19, v37
	v_mul_f32_e32 v53, v17, v35
	;; [unrolled: 1-line block ×5, first 2 shown]
	v_fma_f32 v18, v18, v36, -v51
	v_fmac_f32_e32 v35, v17, v34
	v_fma_f32 v17, v8, v30, -v50
	v_mul_f32_e32 v31, v8, v31
	v_mul_f32_e32 v33, v10, v33
	s_waitcnt vmcnt(2)
	v_mul_f32_e32 v54, v1, v39
	s_waitcnt vmcnt(1)
	v_mul_f32_e32 v55, v15, v45
	v_fma_f32 v16, v16, v34, -v53
	v_fma_f32 v10, v10, v32, -v52
	v_sub_f32_e32 v8, v17, v18
	v_mul_f32_e32 v45, v14, v45
	v_mul_f32_e32 v56, v3, v41
	;; [unrolled: 1-line block ×3, first 2 shown]
	v_fmac_f32_e32 v37, v19, v36
	v_fmac_f32_e32 v31, v9, v30
	;; [unrolled: 1-line block ×3, first 2 shown]
	v_fma_f32 v11, v0, v38, -v54
	v_fma_f32 v14, v14, v44, -v55
	v_sub_f32_e32 v9, v10, v16
	v_mul_f32_e32 v52, 0xbe903f40, v8
	v_mul_f32_e32 v39, v0, v39
	;; [unrolled: 1-line block ×3, first 2 shown]
	s_waitcnt vmcnt(0)
	v_mul_f32_e32 v58, v5, v47
	v_mul_f32_e32 v59, v7, v49
	v_fmac_f32_e32 v45, v15, v44
	v_fma_f32 v15, v2, v40, -v56
	v_fma_f32 v12, v12, v42, -v57
	v_add_f32_e32 v30, v31, v37
	v_sub_f32_e32 v34, v11, v14
	v_mul_f32_e32 v53, 0x3f0a6770, v9
	v_mov_b32_e32 v0, v52
	v_mul_f32_e32 v41, v2, v41
	v_fmac_f32_e32 v39, v1, v38
	v_fmac_f32_e32 v43, v13, v42
	v_fma_f32 v13, v4, v46, -v58
	v_fma_f32 v19, v6, v48, -v59
	v_add_f32_e32 v32, v33, v35
	v_sub_f32_e32 v38, v15, v12
	v_mul_f32_e32 v54, 0xbf4178ce, v34
	v_mov_b32_e32 v1, v53
	v_fmac_f32_e32 v0, 0xbf75a155, v30
	v_mul_f32_e32 v49, v6, v49
	v_mul_f32_e32 v47, v4, v47
	v_fmac_f32_e32 v41, v3, v40
	v_add_f32_e32 v36, v39, v45
	v_sub_f32_e32 v42, v13, v19
	v_mul_f32_e32 v55, 0x3f68dda4, v38
	v_mov_b32_e32 v2, v54
	v_fmac_f32_e32 v1, 0x3f575c64, v32
	v_add_f32_e32 v0, v26, v0
	v_fmac_f32_e32 v49, v7, v48
	v_fmac_f32_e32 v47, v5, v46
	v_add_f32_e32 v40, v41, v43
	v_sub_f32_e32 v48, v31, v37
	v_mul_f32_e32 v56, 0xbf7d64f0, v42
	v_mov_b32_e32 v3, v55
	v_fmac_f32_e32 v2, 0xbf27a4f4, v36
	v_add_f32_e32 v0, v1, v0
	v_add_f32_e32 v44, v47, v49
	;; [unrolled: 1-line block ×3, first 2 shown]
	v_sub_f32_e32 v51, v33, v35
	v_mul_f32_e32 v57, 0xbe903f40, v48
	v_mov_b32_e32 v4, v56
	v_fmac_f32_e32 v3, 0x3ed4b147, v40
	v_add_f32_e32 v0, v2, v0
	v_add_f32_e32 v50, v10, v16
	v_mul_f32_e32 v58, 0x3f0a6770, v51
	v_fma_f32 v5, v46, s0, -v57
	v_fmac_f32_e32 v4, 0xbe11bafb, v44
	v_add_f32_e32 v0, v3, v0
	v_sub_f32_e32 v60, v39, v45
	v_add_f32_e32 v5, v25, v5
	v_add_f32_e32 v1, v4, v0
	v_fma_f32 v0, v50, s1, -v58
	v_add_f32_e32 v59, v11, v14
	v_mul_f32_e32 v61, 0xbf4178ce, v60
	v_sub_f32_e32 v63, v41, v43
	v_add_f32_e32 v0, v0, v5
	v_fma_f32 v2, v59, s6, -v61
	v_add_f32_e32 v62, v15, v12
	v_mul_f32_e32 v64, 0x3f68dda4, v63
	v_sub_f32_e32 v66, v47, v49
	v_add_f32_e32 v0, v2, v0
	v_fma_f32 v2, v62, s7, -v64
	v_add_f32_e32 v65, v13, v19
	v_mul_f32_e32 v67, 0xbf7d64f0, v66
	v_add_f32_e32 v0, v2, v0
	v_fma_f32 v2, v65, s8, -v67
	v_mul_f32_e32 v68, 0xbf4178ce, v8
	v_add_f32_e32 v0, v2, v0
	v_mov_b32_e32 v2, v68
	v_mul_f32_e32 v69, 0x3f7d64f0, v9
	v_fmac_f32_e32 v2, 0xbf27a4f4, v30
	v_mov_b32_e32 v3, v69
	v_add_f32_e32 v2, v26, v2
	v_fmac_f32_e32 v3, 0xbe11bafb, v32
	v_mul_f32_e32 v70, 0xbf0a6770, v34
	v_add_f32_e32 v2, v3, v2
	v_mov_b32_e32 v3, v70
	v_fmac_f32_e32 v3, 0x3f575c64, v36
	v_mul_f32_e32 v71, 0xbe903f40, v38
	v_add_f32_e32 v2, v3, v2
	v_mov_b32_e32 v3, v71
	v_fmac_f32_e32 v3, 0xbf75a155, v40
	v_mul_f32_e32 v72, 0xbf4178ce, v48
	v_add_f32_e32 v2, v3, v2
	v_fma_f32 v3, v46, s6, -v72
	v_mul_f32_e32 v73, 0x3f7d64f0, v51
	v_add_f32_e32 v3, v25, v3
	v_fma_f32 v4, v50, s8, -v73
	;; [unrolled: 3-line block ×4, first 2 shown]
	v_mul_f32_e32 v76, 0x3f68dda4, v42
	v_add_f32_e32 v4, v4, v3
	v_mov_b32_e32 v3, v76
	v_fmac_f32_e32 v3, 0x3ed4b147, v44
	v_mul_f32_e32 v77, 0x3f68dda4, v66
	v_add_f32_e32 v3, v3, v2
	v_fma_f32 v2, v65, s7, -v77
	v_mul_f32_e32 v78, 0xbf7d64f0, v8
	v_add_f32_e32 v2, v2, v4
	v_mov_b32_e32 v4, v78
	v_mul_f32_e32 v79, 0x3e903f40, v9
	v_fmac_f32_e32 v4, 0xbe11bafb, v30
	v_mov_b32_e32 v5, v79
	v_add_f32_e32 v4, v26, v4
	v_fmac_f32_e32 v5, 0xbf75a155, v32
	v_mul_f32_e32 v80, 0x3f68dda4, v34
	v_add_f32_e32 v4, v5, v4
	v_mov_b32_e32 v5, v80
	v_fmac_f32_e32 v5, 0x3ed4b147, v36
	v_mul_f32_e32 v81, 0xbf0a6770, v38
	v_add_f32_e32 v4, v5, v4
	v_mov_b32_e32 v5, v81
	v_fmac_f32_e32 v5, 0x3f575c64, v40
	v_mul_f32_e32 v82, 0xbf7d64f0, v48
	v_add_f32_e32 v4, v5, v4
	v_fma_f32 v5, v46, s8, -v82
	v_mul_f32_e32 v83, 0x3e903f40, v51
	v_add_f32_e32 v5, v25, v5
	v_fma_f32 v6, v50, s0, -v83
	;; [unrolled: 3-line block ×4, first 2 shown]
	v_mul_f32_e32 v86, 0xbf4178ce, v42
	v_add_f32_e32 v6, v6, v5
	v_mov_b32_e32 v5, v86
	v_fmac_f32_e32 v5, 0xbf27a4f4, v44
	v_mul_f32_e32 v87, 0xbf4178ce, v66
	v_add_f32_e32 v5, v5, v4
	v_fma_f32 v4, v65, s6, -v87
	v_mul_f32_e32 v88, 0xbf68dda4, v8
	v_add_f32_e32 v4, v4, v6
	v_mov_b32_e32 v6, v88
	v_mul_f32_e32 v89, 0xbf4178ce, v9
	v_add_f32_e32 v17, v25, v17
	v_fmac_f32_e32 v6, 0x3ed4b147, v30
	v_mov_b32_e32 v7, v89
	v_add_f32_e32 v10, v17, v10
	v_add_f32_e32 v6, v26, v6
	v_fmac_f32_e32 v7, 0xbf27a4f4, v32
	v_mul_f32_e32 v90, 0x3e903f40, v34
	v_add_f32_e32 v10, v10, v11
	v_add_f32_e32 v6, v7, v6
	v_mov_b32_e32 v7, v90
	v_add_f32_e32 v10, v10, v15
	v_fmac_f32_e32 v7, 0xbf75a155, v36
	v_mul_f32_e32 v91, 0x3f7d64f0, v38
	v_add_f32_e32 v10, v10, v13
	v_add_f32_e32 v6, v7, v6
	v_mov_b32_e32 v7, v91
	v_add_f32_e32 v10, v10, v19
	v_fmac_f32_e32 v7, 0xbe11bafb, v40
	v_mul_f32_e32 v92, 0xbf68dda4, v48
	v_add_f32_e32 v10, v10, v12
	v_fma_f32 v12, v30, s0, -v52
	v_add_f32_e32 v6, v7, v6
	v_fma_f32 v7, v46, s7, -v92
	v_mul_f32_e32 v93, 0xbf4178ce, v51
	v_add_f32_e32 v12, v26, v12
	v_fma_f32 v13, v32, s1, -v53
	v_add_f32_e32 v7, v25, v7
	v_fma_f32 v94, v50, s6, -v93
	;; [unrolled: 2-line block ×3, first 2 shown]
	v_add_f32_e32 v7, v94, v7
	v_mul_f32_e32 v94, 0x3e903f40, v60
	v_add_f32_e32 v12, v13, v12
	v_fma_f32 v13, v40, s7, -v55
	v_fmac_f32_e32 v57, 0xbf75a155, v46
	v_fma_f32 v95, v59, s0, -v94
	v_add_f32_e32 v12, v13, v12
	v_add_f32_e32 v13, v25, v57
	v_fmac_f32_e32 v58, 0x3f575c64, v50
	v_add_f32_e32 v7, v95, v7
	v_mul_f32_e32 v95, 0x3f7d64f0, v63
	v_add_f32_e32 v13, v58, v13
	v_fmac_f32_e32 v61, 0xbf27a4f4, v59
	v_fma_f32 v96, v62, s8, -v95
	v_mul_f32_e32 v97, 0x3f0a6770, v42
	v_add_f32_e32 v13, v61, v13
	v_fmac_f32_e32 v64, 0x3ed4b147, v62
	v_add_f32_e32 v96, v96, v7
	v_mov_b32_e32 v7, v97
	v_add_f32_e32 v10, v10, v14
	v_add_f32_e32 v14, v64, v13
	v_fma_f32 v13, v44, s8, -v56
	v_fmac_f32_e32 v67, 0xbe11bafb, v65
	v_fmac_f32_e32 v7, 0x3f575c64, v44
	v_mul_f32_e32 v98, 0x3f0a6770, v66
	v_add_f32_e32 v13, v13, v12
	v_add_f32_e32 v12, v67, v14
	v_fma_f32 v14, v30, s6, -v68
	v_add_f32_e32 v7, v7, v6
	v_fma_f32 v6, v65, s1, -v98
	;; [unrolled: 2-line block ×3, first 2 shown]
	v_add_f32_e32 v6, v6, v96
	v_mul_f32_e32 v96, 0xbf0a6770, v8
	v_add_f32_e32 v14, v15, v14
	v_fma_f32 v15, v36, s1, -v70
	v_mov_b32_e32 v8, v96
	v_mul_f32_e32 v99, 0xbf68dda4, v9
	v_add_f32_e32 v14, v15, v14
	v_fma_f32 v15, v40, s0, -v71
	v_fmac_f32_e32 v72, 0xbf27a4f4, v46
	v_fmac_f32_e32 v8, 0x3f575c64, v30
	v_mov_b32_e32 v9, v99
	v_add_f32_e32 v14, v15, v14
	v_add_f32_e32 v15, v25, v72
	v_fmac_f32_e32 v73, 0xbe11bafb, v50
	v_add_f32_e32 v8, v26, v8
	v_fmac_f32_e32 v9, 0x3ed4b147, v32
	v_mul_f32_e32 v34, 0xbf7d64f0, v34
	v_add_f32_e32 v15, v73, v15
	v_fmac_f32_e32 v74, 0x3f575c64, v59
	v_add_f32_e32 v8, v9, v8
	v_mov_b32_e32 v9, v34
	v_add_f32_e32 v15, v74, v15
	v_fmac_f32_e32 v75, 0xbf75a155, v62
	v_fmac_f32_e32 v9, 0xbe11bafb, v36
	v_mul_f32_e32 v38, 0xbf4178ce, v38
	v_add_f32_e32 v31, v26, v31
	v_add_f32_e32 v10, v10, v16
	;; [unrolled: 1-line block ×3, first 2 shown]
	v_fma_f32 v15, v44, s7, -v76
	v_fmac_f32_e32 v77, 0x3ed4b147, v65
	v_add_f32_e32 v8, v9, v8
	v_mov_b32_e32 v9, v38
	v_add_f32_e32 v31, v31, v33
	v_add_f32_e32 v10, v10, v18
	;; [unrolled: 1-line block ×4, first 2 shown]
	v_fma_f32 v16, v30, s8, -v78
	v_fma_f32 v18, v30, s7, -v88
	v_fmac_f32_e32 v9, 0xbf27a4f4, v40
	v_mul_f32_e32 v48, 0xbf0a6770, v48
	v_add_f32_e32 v31, v31, v39
	v_add_f32_e32 v16, v26, v16
	v_fma_f32 v17, v32, s0, -v79
	v_add_f32_e32 v18, v26, v18
	v_fma_f32 v19, v32, s6, -v89
	v_add_f32_e32 v8, v9, v8
	v_fma_f32 v9, v46, s1, -v48
	v_mul_f32_e32 v51, 0xbf68dda4, v51
	v_add_f32_e32 v31, v31, v41
	v_add_f32_e32 v16, v17, v16
	v_fma_f32 v17, v36, s7, -v80
	v_add_f32_e32 v18, v19, v18
	v_fma_f32 v19, v36, s0, -v90
	v_add_f32_e32 v9, v25, v9
	v_fma_f32 v100, v50, s7, -v51
	;; [unrolled: 8-line block ×3, first 2 shown]
	v_mul_f32_e32 v63, 0xbf4178ce, v63
	v_add_f32_e32 v31, v31, v49
	v_add_f32_e32 v16, v17, v16
	v_fma_f32 v17, v44, s6, -v86
	v_fmac_f32_e32 v82, 0xbe11bafb, v46
	v_add_f32_e32 v18, v19, v18
	v_fma_f32 v19, v44, s1, -v97
	v_fmac_f32_e32 v92, 0x3ed4b147, v46
	v_fma_f32 v30, v30, s1, -v96
	v_fmac_f32_e32 v48, 0x3f575c64, v46
	v_add_f32_e32 v9, v100, v9
	v_fma_f32 v100, v62, s6, -v63
	v_mul_f32_e32 v42, 0xbe903f40, v42
	v_add_f32_e32 v31, v31, v43
	v_add_f32_e32 v17, v17, v16
	;; [unrolled: 1-line block ×3, first 2 shown]
	v_fmac_f32_e32 v83, 0xbf75a155, v50
	v_add_f32_e32 v19, v19, v18
	v_add_f32_e32 v18, v25, v92
	v_fmac_f32_e32 v93, 0xbf27a4f4, v50
	v_add_f32_e32 v26, v26, v30
	v_fma_f32 v30, v32, s7, -v99
	v_add_f32_e32 v25, v25, v48
	v_fmac_f32_e32 v51, 0x3ed4b147, v50
	v_add_f32_e32 v100, v100, v9
	v_mov_b32_e32 v9, v42
	v_add_f32_e32 v31, v31, v45
	v_add_f32_e32 v16, v83, v16
	v_fmac_f32_e32 v84, 0x3ed4b147, v59
	v_add_f32_e32 v18, v93, v18
	v_fmac_f32_e32 v94, 0xbf75a155, v59
	v_add_f32_e32 v26, v30, v26
	v_fma_f32 v30, v36, s8, -v34
	v_add_f32_e32 v25, v51, v25
	v_fmac_f32_e32 v60, 0xbe11bafb, v59
	v_fmac_f32_e32 v9, 0xbf75a155, v44
	v_mul_f32_e32 v66, 0xbe903f40, v66
	v_add_f32_e32 v31, v31, v35
	v_add_f32_e32 v16, v84, v16
	v_fmac_f32_e32 v85, 0x3f575c64, v62
	v_add_f32_e32 v18, v94, v18
	v_fmac_f32_e32 v95, 0xbe11bafb, v62
	v_add_f32_e32 v26, v30, v26
	v_fma_f32 v30, v40, s6, -v38
	v_add_f32_e32 v25, v60, v25
	v_fmac_f32_e32 v63, 0xbf27a4f4, v62
	v_add_f32_e32 v9, v9, v8
	v_fma_f32 v8, v65, s0, -v66
	v_add_f32_e32 v11, v31, v37
	v_add_f32_e32 v16, v85, v16
	v_fmac_f32_e32 v87, 0xbf27a4f4, v65
	v_add_f32_e32 v18, v95, v18
	v_fmac_f32_e32 v98, 0x3f575c64, v65
	v_add_f32_e32 v26, v30, v26
	v_fma_f32 v30, v44, s0, -v42
	v_add_f32_e32 v25, v63, v25
	v_fmac_f32_e32 v66, 0xbf75a155, v65
	v_add_f32_e32 v8, v8, v100
	v_add_f32_e32 v16, v87, v16
	;; [unrolled: 1-line block ×5, first 2 shown]
	ds_write_b64 v28, v[10:11]
	ds_write2_b64 v29, v[8:9], v[6:7] offset0:20 offset1:40
	ds_write2_b64 v29, v[4:5], v[2:3] offset0:60 offset1:80
	;; [unrolled: 1-line block ×5, first 2 shown]
.LBB0_22:
	s_or_b64 exec, exec, s[4:5]
	s_waitcnt lgkmcnt(0)
	s_barrier
	s_and_saveexec_b64 s[0:1], vcc
	s_cbranch_execz .LBB0_24
; %bb.23:
	v_mul_lo_u32 v0, s3, v22
	v_mul_lo_u32 v1, s2, v23
	v_mad_u64_u32 v[4:5], s[0:1], s2, v22, 0
	v_mov_b32_e32 v7, s11
	v_lshl_add_u32 v6, v24, 3, v27
	v_add3_u32 v5, v5, v1, v0
	v_lshlrev_b64 v[4:5], 3, v[4:5]
	v_mov_b32_e32 v25, 0
	v_add_co_u32_e32 v8, vcc, s10, v4
	v_addc_co_u32_e32 v7, vcc, v7, v5, vcc
	v_lshlrev_b64 v[4:5], 3, v[20:21]
	ds_read2_b64 v[0:3], v6 offset1:22
	v_add_co_u32_e32 v8, vcc, v8, v4
	v_addc_co_u32_e32 v7, vcc, v7, v5, vcc
	v_lshlrev_b64 v[4:5], 3, v[24:25]
	v_add_co_u32_e32 v4, vcc, v8, v4
	v_addc_co_u32_e32 v5, vcc, v7, v5, vcc
	s_waitcnt lgkmcnt(0)
	global_store_dwordx2 v[4:5], v[0:1], off
	v_add_u32_e32 v0, 22, v24
	v_mov_b32_e32 v1, v25
	v_lshlrev_b64 v[0:1], 3, v[0:1]
	v_add_u32_e32 v4, 44, v24
	v_add_co_u32_e32 v0, vcc, v8, v0
	v_addc_co_u32_e32 v1, vcc, v7, v1, vcc
	global_store_dwordx2 v[0:1], v[2:3], off
	v_mov_b32_e32 v5, v25
	ds_read2_b64 v[0:3], v6 offset0:44 offset1:66
	v_lshlrev_b64 v[4:5], 3, v[4:5]
	v_add_co_u32_e32 v4, vcc, v8, v4
	v_addc_co_u32_e32 v5, vcc, v7, v5, vcc
	s_waitcnt lgkmcnt(0)
	global_store_dwordx2 v[4:5], v[0:1], off
	v_add_u32_e32 v0, 0x42, v24
	v_mov_b32_e32 v1, v25
	v_lshlrev_b64 v[0:1], 3, v[0:1]
	v_add_u32_e32 v4, 0x58, v24
	v_add_co_u32_e32 v0, vcc, v8, v0
	v_addc_co_u32_e32 v1, vcc, v7, v1, vcc
	global_store_dwordx2 v[0:1], v[2:3], off
	v_mov_b32_e32 v5, v25
	ds_read2_b64 v[0:3], v6 offset0:88 offset1:110
	v_lshlrev_b64 v[4:5], 3, v[4:5]
	v_add_co_u32_e32 v4, vcc, v8, v4
	v_addc_co_u32_e32 v5, vcc, v7, v5, vcc
	s_waitcnt lgkmcnt(0)
	global_store_dwordx2 v[4:5], v[0:1], off
	v_add_u32_e32 v0, 0x6e, v24
	v_mov_b32_e32 v1, v25
	v_lshlrev_b64 v[0:1], 3, v[0:1]
	v_add_u32_e32 v4, 0x84, v24
	v_add_co_u32_e32 v0, vcc, v8, v0
	v_addc_co_u32_e32 v1, vcc, v7, v1, vcc
	global_store_dwordx2 v[0:1], v[2:3], off
	v_mov_b32_e32 v5, v25
	ds_read2_b64 v[0:3], v6 offset0:132 offset1:154
	v_lshlrev_b64 v[4:5], 3, v[4:5]
	v_add_co_u32_e32 v4, vcc, v8, v4
	v_addc_co_u32_e32 v5, vcc, v7, v5, vcc
	s_waitcnt lgkmcnt(0)
	global_store_dwordx2 v[4:5], v[0:1], off
	v_add_u32_e32 v0, 0x9a, v24
	v_mov_b32_e32 v1, v25
	v_lshlrev_b64 v[0:1], 3, v[0:1]
	v_add_u32_e32 v4, 0xb0, v24
	v_add_co_u32_e32 v0, vcc, v8, v0
	v_addc_co_u32_e32 v1, vcc, v7, v1, vcc
	global_store_dwordx2 v[0:1], v[2:3], off
	v_mov_b32_e32 v5, v25
	ds_read2_b64 v[0:3], v6 offset0:176 offset1:198
	v_lshlrev_b64 v[4:5], 3, v[4:5]
	v_add_u32_e32 v24, 0xc6, v24
	v_add_co_u32_e32 v4, vcc, v8, v4
	v_addc_co_u32_e32 v5, vcc, v7, v5, vcc
	s_waitcnt lgkmcnt(0)
	global_store_dwordx2 v[4:5], v[0:1], off
	v_lshlrev_b64 v[0:1], 3, v[24:25]
	v_add_co_u32_e32 v0, vcc, v8, v0
	v_addc_co_u32_e32 v1, vcc, v7, v1, vcc
	global_store_dwordx2 v[0:1], v[2:3], off
.LBB0_24:
	s_endpgm
	.section	.rodata,"a",@progbits
	.p2align	6, 0x0
	.amdhsa_kernel fft_rtc_fwd_len220_factors_10_2_11_wgs_110_tpt_22_sp_op_CI_CI_unitstride_sbrr_C2R_dirReg
		.amdhsa_group_segment_fixed_size 0
		.amdhsa_private_segment_fixed_size 0
		.amdhsa_kernarg_size 104
		.amdhsa_user_sgpr_count 6
		.amdhsa_user_sgpr_private_segment_buffer 1
		.amdhsa_user_sgpr_dispatch_ptr 0
		.amdhsa_user_sgpr_queue_ptr 0
		.amdhsa_user_sgpr_kernarg_segment_ptr 1
		.amdhsa_user_sgpr_dispatch_id 0
		.amdhsa_user_sgpr_flat_scratch_init 0
		.amdhsa_user_sgpr_private_segment_size 0
		.amdhsa_uses_dynamic_stack 0
		.amdhsa_system_sgpr_private_segment_wavefront_offset 0
		.amdhsa_system_sgpr_workgroup_id_x 1
		.amdhsa_system_sgpr_workgroup_id_y 0
		.amdhsa_system_sgpr_workgroup_id_z 0
		.amdhsa_system_sgpr_workgroup_info 0
		.amdhsa_system_vgpr_workitem_id 0
		.amdhsa_next_free_vgpr 101
		.amdhsa_next_free_sgpr 28
		.amdhsa_reserve_vcc 1
		.amdhsa_reserve_flat_scratch 0
		.amdhsa_float_round_mode_32 0
		.amdhsa_float_round_mode_16_64 0
		.amdhsa_float_denorm_mode_32 3
		.amdhsa_float_denorm_mode_16_64 3
		.amdhsa_dx10_clamp 1
		.amdhsa_ieee_mode 1
		.amdhsa_fp16_overflow 0
		.amdhsa_exception_fp_ieee_invalid_op 0
		.amdhsa_exception_fp_denorm_src 0
		.amdhsa_exception_fp_ieee_div_zero 0
		.amdhsa_exception_fp_ieee_overflow 0
		.amdhsa_exception_fp_ieee_underflow 0
		.amdhsa_exception_fp_ieee_inexact 0
		.amdhsa_exception_int_div_zero 0
	.end_amdhsa_kernel
	.text
.Lfunc_end0:
	.size	fft_rtc_fwd_len220_factors_10_2_11_wgs_110_tpt_22_sp_op_CI_CI_unitstride_sbrr_C2R_dirReg, .Lfunc_end0-fft_rtc_fwd_len220_factors_10_2_11_wgs_110_tpt_22_sp_op_CI_CI_unitstride_sbrr_C2R_dirReg
                                        ; -- End function
	.section	.AMDGPU.csdata,"",@progbits
; Kernel info:
; codeLenInByte = 6928
; NumSgprs: 32
; NumVgprs: 101
; ScratchSize: 0
; MemoryBound: 0
; FloatMode: 240
; IeeeMode: 1
; LDSByteSize: 0 bytes/workgroup (compile time only)
; SGPRBlocks: 3
; VGPRBlocks: 25
; NumSGPRsForWavesPerEU: 32
; NumVGPRsForWavesPerEU: 101
; Occupancy: 2
; WaveLimiterHint : 1
; COMPUTE_PGM_RSRC2:SCRATCH_EN: 0
; COMPUTE_PGM_RSRC2:USER_SGPR: 6
; COMPUTE_PGM_RSRC2:TRAP_HANDLER: 0
; COMPUTE_PGM_RSRC2:TGID_X_EN: 1
; COMPUTE_PGM_RSRC2:TGID_Y_EN: 0
; COMPUTE_PGM_RSRC2:TGID_Z_EN: 0
; COMPUTE_PGM_RSRC2:TIDIG_COMP_CNT: 0
	.type	__hip_cuid_e8700d48ca7c72a8,@object ; @__hip_cuid_e8700d48ca7c72a8
	.section	.bss,"aw",@nobits
	.globl	__hip_cuid_e8700d48ca7c72a8
__hip_cuid_e8700d48ca7c72a8:
	.byte	0                               ; 0x0
	.size	__hip_cuid_e8700d48ca7c72a8, 1

	.ident	"AMD clang version 19.0.0git (https://github.com/RadeonOpenCompute/llvm-project roc-6.4.0 25133 c7fe45cf4b819c5991fe208aaa96edf142730f1d)"
	.section	".note.GNU-stack","",@progbits
	.addrsig
	.addrsig_sym __hip_cuid_e8700d48ca7c72a8
	.amdgpu_metadata
---
amdhsa.kernels:
  - .args:
      - .actual_access:  read_only
        .address_space:  global
        .offset:         0
        .size:           8
        .value_kind:     global_buffer
      - .offset:         8
        .size:           8
        .value_kind:     by_value
      - .actual_access:  read_only
        .address_space:  global
        .offset:         16
        .size:           8
        .value_kind:     global_buffer
      - .actual_access:  read_only
        .address_space:  global
        .offset:         24
        .size:           8
        .value_kind:     global_buffer
      - .actual_access:  read_only
        .address_space:  global
        .offset:         32
        .size:           8
        .value_kind:     global_buffer
      - .offset:         40
        .size:           8
        .value_kind:     by_value
      - .actual_access:  read_only
        .address_space:  global
        .offset:         48
        .size:           8
        .value_kind:     global_buffer
      - .actual_access:  read_only
        .address_space:  global
        .offset:         56
        .size:           8
        .value_kind:     global_buffer
      - .offset:         64
        .size:           4
        .value_kind:     by_value
      - .actual_access:  read_only
        .address_space:  global
        .offset:         72
        .size:           8
        .value_kind:     global_buffer
      - .actual_access:  read_only
        .address_space:  global
        .offset:         80
        .size:           8
        .value_kind:     global_buffer
      - .actual_access:  read_only
        .address_space:  global
        .offset:         88
        .size:           8
        .value_kind:     global_buffer
      - .actual_access:  write_only
        .address_space:  global
        .offset:         96
        .size:           8
        .value_kind:     global_buffer
    .group_segment_fixed_size: 0
    .kernarg_segment_align: 8
    .kernarg_segment_size: 104
    .language:       OpenCL C
    .language_version:
      - 2
      - 0
    .max_flat_workgroup_size: 110
    .name:           fft_rtc_fwd_len220_factors_10_2_11_wgs_110_tpt_22_sp_op_CI_CI_unitstride_sbrr_C2R_dirReg
    .private_segment_fixed_size: 0
    .sgpr_count:     32
    .sgpr_spill_count: 0
    .symbol:         fft_rtc_fwd_len220_factors_10_2_11_wgs_110_tpt_22_sp_op_CI_CI_unitstride_sbrr_C2R_dirReg.kd
    .uniform_work_group_size: 1
    .uses_dynamic_stack: false
    .vgpr_count:     101
    .vgpr_spill_count: 0
    .wavefront_size: 64
amdhsa.target:   amdgcn-amd-amdhsa--gfx906
amdhsa.version:
  - 1
  - 2
...

	.end_amdgpu_metadata
